;; amdgpu-corpus repo=ROCm/rocFFT kind=compiled arch=gfx1201 opt=O3
	.text
	.amdgcn_target "amdgcn-amd-amdhsa--gfx1201"
	.amdhsa_code_object_version 6
	.protected	fft_rtc_back_len726_factors_11_6_11_wgs_132_tpt_66_dp_ip_CI_unitstride_sbrr_C2R_dirReg ; -- Begin function fft_rtc_back_len726_factors_11_6_11_wgs_132_tpt_66_dp_ip_CI_unitstride_sbrr_C2R_dirReg
	.globl	fft_rtc_back_len726_factors_11_6_11_wgs_132_tpt_66_dp_ip_CI_unitstride_sbrr_C2R_dirReg
	.p2align	8
	.type	fft_rtc_back_len726_factors_11_6_11_wgs_132_tpt_66_dp_ip_CI_unitstride_sbrr_C2R_dirReg,@function
fft_rtc_back_len726_factors_11_6_11_wgs_132_tpt_66_dp_ip_CI_unitstride_sbrr_C2R_dirReg: ; @fft_rtc_back_len726_factors_11_6_11_wgs_132_tpt_66_dp_ip_CI_unitstride_sbrr_C2R_dirReg
; %bb.0:
	s_clause 0x2
	s_load_b128 s[4:7], s[0:1], 0x0
	s_load_b64 s[8:9], s[0:1], 0x50
	s_load_b64 s[10:11], s[0:1], 0x18
	v_mul_u32_u24_e32 v1, 0x3e1, v0
	v_mov_b32_e32 v3, 0
	s_delay_alu instid0(VALU_DEP_2) | instskip(SKIP_2) | instid1(VALU_DEP_4)
	v_lshrrev_b32_e32 v9, 16, v1
	v_mov_b32_e32 v1, 0
	v_mov_b32_e32 v2, 0
	;; [unrolled: 1-line block ×3, first 2 shown]
	s_delay_alu instid0(VALU_DEP_4) | instskip(SKIP_2) | instid1(VALU_DEP_1)
	v_lshl_add_u32 v5, ttmp9, 1, v9
	s_wait_kmcnt 0x0
	v_cmp_lt_u64_e64 s2, s[6:7], 2
	s_and_b32 vcc_lo, exec_lo, s2
	s_cbranch_vccnz .LBB0_8
; %bb.1:
	s_load_b64 s[2:3], s[0:1], 0x10
	v_mov_b32_e32 v1, 0
	v_mov_b32_e32 v2, 0
	s_add_nc_u64 s[12:13], s[10:11], 8
	s_mov_b64 s[14:15], 1
	s_wait_kmcnt 0x0
	s_add_nc_u64 s[16:17], s[2:3], 8
	s_mov_b32 s3, 0
.LBB0_2:                                ; =>This Inner Loop Header: Depth=1
	s_load_b64 s[18:19], s[16:17], 0x0
                                        ; implicit-def: $vgpr7_vgpr8
	s_mov_b32 s2, exec_lo
	s_wait_kmcnt 0x0
	v_or_b32_e32 v4, s19, v6
	s_delay_alu instid0(VALU_DEP_1)
	v_cmpx_ne_u64_e32 0, v[3:4]
	s_wait_alu 0xfffe
	s_xor_b32 s20, exec_lo, s2
	s_cbranch_execz .LBB0_4
; %bb.3:                                ;   in Loop: Header=BB0_2 Depth=1
	s_cvt_f32_u32 s2, s18
	s_cvt_f32_u32 s21, s19
	s_sub_nc_u64 s[24:25], 0, s[18:19]
	s_wait_alu 0xfffe
	s_delay_alu instid0(SALU_CYCLE_1) | instskip(SKIP_1) | instid1(SALU_CYCLE_2)
	s_fmamk_f32 s2, s21, 0x4f800000, s2
	s_wait_alu 0xfffe
	v_s_rcp_f32 s2, s2
	s_delay_alu instid0(TRANS32_DEP_1) | instskip(SKIP_1) | instid1(SALU_CYCLE_2)
	s_mul_f32 s2, s2, 0x5f7ffffc
	s_wait_alu 0xfffe
	s_mul_f32 s21, s2, 0x2f800000
	s_wait_alu 0xfffe
	s_delay_alu instid0(SALU_CYCLE_2) | instskip(SKIP_1) | instid1(SALU_CYCLE_2)
	s_trunc_f32 s21, s21
	s_wait_alu 0xfffe
	s_fmamk_f32 s2, s21, 0xcf800000, s2
	s_cvt_u32_f32 s23, s21
	s_wait_alu 0xfffe
	s_delay_alu instid0(SALU_CYCLE_1) | instskip(SKIP_1) | instid1(SALU_CYCLE_2)
	s_cvt_u32_f32 s22, s2
	s_wait_alu 0xfffe
	s_mul_u64 s[26:27], s[24:25], s[22:23]
	s_wait_alu 0xfffe
	s_mul_hi_u32 s29, s22, s27
	s_mul_i32 s28, s22, s27
	s_mul_hi_u32 s2, s22, s26
	s_mul_i32 s30, s23, s26
	s_wait_alu 0xfffe
	s_add_nc_u64 s[28:29], s[2:3], s[28:29]
	s_mul_hi_u32 s21, s23, s26
	s_mul_hi_u32 s31, s23, s27
	s_add_co_u32 s2, s28, s30
	s_wait_alu 0xfffe
	s_add_co_ci_u32 s2, s29, s21
	s_mul_i32 s26, s23, s27
	s_add_co_ci_u32 s27, s31, 0
	s_wait_alu 0xfffe
	s_add_nc_u64 s[26:27], s[2:3], s[26:27]
	s_wait_alu 0xfffe
	v_add_co_u32 v4, s2, s22, s26
	s_delay_alu instid0(VALU_DEP_1) | instskip(SKIP_1) | instid1(VALU_DEP_1)
	s_cmp_lg_u32 s2, 0
	s_add_co_ci_u32 s23, s23, s27
	v_readfirstlane_b32 s22, v4
	s_wait_alu 0xfffe
	s_delay_alu instid0(VALU_DEP_1)
	s_mul_u64 s[24:25], s[24:25], s[22:23]
	s_wait_alu 0xfffe
	s_mul_hi_u32 s27, s22, s25
	s_mul_i32 s26, s22, s25
	s_mul_hi_u32 s2, s22, s24
	s_mul_i32 s28, s23, s24
	s_wait_alu 0xfffe
	s_add_nc_u64 s[26:27], s[2:3], s[26:27]
	s_mul_hi_u32 s21, s23, s24
	s_mul_hi_u32 s22, s23, s25
	s_wait_alu 0xfffe
	s_add_co_u32 s2, s26, s28
	s_add_co_ci_u32 s2, s27, s21
	s_mul_i32 s24, s23, s25
	s_add_co_ci_u32 s25, s22, 0
	s_wait_alu 0xfffe
	s_add_nc_u64 s[24:25], s[2:3], s[24:25]
	s_wait_alu 0xfffe
	v_add_co_u32 v4, s2, v4, s24
	s_delay_alu instid0(VALU_DEP_1) | instskip(SKIP_1) | instid1(VALU_DEP_1)
	s_cmp_lg_u32 s2, 0
	s_add_co_ci_u32 s2, s23, s25
	v_mul_hi_u32 v14, v5, v4
	s_wait_alu 0xfffe
	v_mad_co_u64_u32 v[7:8], null, v5, s2, 0
	v_mad_co_u64_u32 v[10:11], null, v6, v4, 0
	;; [unrolled: 1-line block ×3, first 2 shown]
	s_delay_alu instid0(VALU_DEP_3) | instskip(SKIP_1) | instid1(VALU_DEP_4)
	v_add_co_u32 v4, vcc_lo, v14, v7
	s_wait_alu 0xfffd
	v_add_co_ci_u32_e32 v7, vcc_lo, 0, v8, vcc_lo
	s_delay_alu instid0(VALU_DEP_2) | instskip(SKIP_1) | instid1(VALU_DEP_2)
	v_add_co_u32 v4, vcc_lo, v4, v10
	s_wait_alu 0xfffd
	v_add_co_ci_u32_e32 v4, vcc_lo, v7, v11, vcc_lo
	s_wait_alu 0xfffd
	v_add_co_ci_u32_e32 v7, vcc_lo, 0, v13, vcc_lo
	s_delay_alu instid0(VALU_DEP_2) | instskip(SKIP_1) | instid1(VALU_DEP_2)
	v_add_co_u32 v4, vcc_lo, v4, v12
	s_wait_alu 0xfffd
	v_add_co_ci_u32_e32 v10, vcc_lo, 0, v7, vcc_lo
	s_delay_alu instid0(VALU_DEP_2) | instskip(SKIP_1) | instid1(VALU_DEP_3)
	v_mul_lo_u32 v11, s19, v4
	v_mad_co_u64_u32 v[7:8], null, s18, v4, 0
	v_mul_lo_u32 v12, s18, v10
	s_delay_alu instid0(VALU_DEP_2) | instskip(NEXT) | instid1(VALU_DEP_2)
	v_sub_co_u32 v7, vcc_lo, v5, v7
	v_add3_u32 v8, v8, v12, v11
	s_delay_alu instid0(VALU_DEP_1) | instskip(SKIP_1) | instid1(VALU_DEP_1)
	v_sub_nc_u32_e32 v11, v6, v8
	s_wait_alu 0xfffd
	v_subrev_co_ci_u32_e64 v11, s2, s19, v11, vcc_lo
	v_add_co_u32 v12, s2, v4, 2
	s_wait_alu 0xf1ff
	v_add_co_ci_u32_e64 v13, s2, 0, v10, s2
	v_sub_co_u32 v14, s2, v7, s18
	v_sub_co_ci_u32_e32 v8, vcc_lo, v6, v8, vcc_lo
	s_wait_alu 0xf1ff
	v_subrev_co_ci_u32_e64 v11, s2, 0, v11, s2
	s_delay_alu instid0(VALU_DEP_3) | instskip(NEXT) | instid1(VALU_DEP_3)
	v_cmp_le_u32_e32 vcc_lo, s18, v14
	v_cmp_eq_u32_e64 s2, s19, v8
	s_wait_alu 0xfffd
	v_cndmask_b32_e64 v14, 0, -1, vcc_lo
	v_cmp_le_u32_e32 vcc_lo, s19, v11
	s_wait_alu 0xfffd
	v_cndmask_b32_e64 v15, 0, -1, vcc_lo
	v_cmp_le_u32_e32 vcc_lo, s18, v7
	;; [unrolled: 3-line block ×3, first 2 shown]
	s_wait_alu 0xfffd
	v_cndmask_b32_e64 v16, 0, -1, vcc_lo
	v_cmp_eq_u32_e32 vcc_lo, s19, v11
	s_wait_alu 0xf1ff
	s_delay_alu instid0(VALU_DEP_2)
	v_cndmask_b32_e64 v7, v16, v7, s2
	s_wait_alu 0xfffd
	v_cndmask_b32_e32 v11, v15, v14, vcc_lo
	v_add_co_u32 v14, vcc_lo, v4, 1
	s_wait_alu 0xfffd
	v_add_co_ci_u32_e32 v15, vcc_lo, 0, v10, vcc_lo
	s_delay_alu instid0(VALU_DEP_3) | instskip(SKIP_1) | instid1(VALU_DEP_2)
	v_cmp_ne_u32_e32 vcc_lo, 0, v11
	s_wait_alu 0xfffd
	v_dual_cndmask_b32 v8, v15, v13 :: v_dual_cndmask_b32 v11, v14, v12
	v_cmp_ne_u32_e32 vcc_lo, 0, v7
	s_wait_alu 0xfffd
	s_delay_alu instid0(VALU_DEP_2)
	v_dual_cndmask_b32 v8, v10, v8 :: v_dual_cndmask_b32 v7, v4, v11
.LBB0_4:                                ;   in Loop: Header=BB0_2 Depth=1
	s_wait_alu 0xfffe
	s_and_not1_saveexec_b32 s2, s20
	s_cbranch_execz .LBB0_6
; %bb.5:                                ;   in Loop: Header=BB0_2 Depth=1
	v_cvt_f32_u32_e32 v4, s18
	s_sub_co_i32 s20, 0, s18
	s_delay_alu instid0(VALU_DEP_1) | instskip(NEXT) | instid1(TRANS32_DEP_1)
	v_rcp_iflag_f32_e32 v4, v4
	v_mul_f32_e32 v4, 0x4f7ffffe, v4
	s_delay_alu instid0(VALU_DEP_1) | instskip(SKIP_1) | instid1(VALU_DEP_1)
	v_cvt_u32_f32_e32 v4, v4
	s_wait_alu 0xfffe
	v_mul_lo_u32 v7, s20, v4
	s_delay_alu instid0(VALU_DEP_1) | instskip(NEXT) | instid1(VALU_DEP_1)
	v_mul_hi_u32 v7, v4, v7
	v_add_nc_u32_e32 v4, v4, v7
	s_delay_alu instid0(VALU_DEP_1) | instskip(NEXT) | instid1(VALU_DEP_1)
	v_mul_hi_u32 v4, v5, v4
	v_mul_lo_u32 v7, v4, s18
	v_add_nc_u32_e32 v8, 1, v4
	s_delay_alu instid0(VALU_DEP_2) | instskip(NEXT) | instid1(VALU_DEP_1)
	v_sub_nc_u32_e32 v7, v5, v7
	v_subrev_nc_u32_e32 v10, s18, v7
	v_cmp_le_u32_e32 vcc_lo, s18, v7
	s_wait_alu 0xfffd
	s_delay_alu instid0(VALU_DEP_2) | instskip(NEXT) | instid1(VALU_DEP_1)
	v_dual_cndmask_b32 v7, v7, v10 :: v_dual_cndmask_b32 v4, v4, v8
	v_cmp_le_u32_e32 vcc_lo, s18, v7
	s_delay_alu instid0(VALU_DEP_2) | instskip(SKIP_1) | instid1(VALU_DEP_1)
	v_add_nc_u32_e32 v8, 1, v4
	s_wait_alu 0xfffd
	v_dual_cndmask_b32 v7, v4, v8 :: v_dual_mov_b32 v8, v3
.LBB0_6:                                ;   in Loop: Header=BB0_2 Depth=1
	s_wait_alu 0xfffe
	s_or_b32 exec_lo, exec_lo, s2
	s_load_b64 s[20:21], s[12:13], 0x0
	s_delay_alu instid0(VALU_DEP_1)
	v_mul_lo_u32 v4, v8, s18
	v_mul_lo_u32 v12, v7, s19
	v_mad_co_u64_u32 v[10:11], null, v7, s18, 0
	s_add_nc_u64 s[14:15], s[14:15], 1
	s_add_nc_u64 s[12:13], s[12:13], 8
	s_wait_alu 0xfffe
	v_cmp_ge_u64_e64 s2, s[14:15], s[6:7]
	s_add_nc_u64 s[16:17], s[16:17], 8
	s_delay_alu instid0(VALU_DEP_2) | instskip(NEXT) | instid1(VALU_DEP_3)
	v_add3_u32 v4, v11, v12, v4
	v_sub_co_u32 v5, vcc_lo, v5, v10
	s_wait_alu 0xfffd
	s_delay_alu instid0(VALU_DEP_2) | instskip(SKIP_3) | instid1(VALU_DEP_2)
	v_sub_co_ci_u32_e32 v4, vcc_lo, v6, v4, vcc_lo
	s_and_b32 vcc_lo, exec_lo, s2
	s_wait_kmcnt 0x0
	v_mul_lo_u32 v6, s21, v5
	v_mul_lo_u32 v4, s20, v4
	v_mad_co_u64_u32 v[1:2], null, s20, v5, v[1:2]
	s_delay_alu instid0(VALU_DEP_1)
	v_add3_u32 v2, v6, v2, v4
	s_wait_alu 0xfffe
	s_cbranch_vccnz .LBB0_9
; %bb.7:                                ;   in Loop: Header=BB0_2 Depth=1
	v_dual_mov_b32 v5, v7 :: v_dual_mov_b32 v6, v8
	s_branch .LBB0_2
.LBB0_8:
	v_dual_mov_b32 v8, v6 :: v_dual_mov_b32 v7, v5
.LBB0_9:
	s_lshl_b64 s[2:3], s[6:7], 3
	v_mul_hi_u32 v5, 0x3e0f83f, v0
	s_wait_alu 0xfffe
	s_add_nc_u64 s[2:3], s[10:11], s[2:3]
	s_load_b64 s[2:3], s[2:3], 0x0
	s_load_b64 s[0:1], s[0:1], 0x20
	s_delay_alu instid0(VALU_DEP_1) | instskip(NEXT) | instid1(VALU_DEP_1)
	v_mul_u32_u24_e32 v5, 0x42, v5
	v_sub_nc_u32_e32 v48, v0, v5
	s_wait_kmcnt 0x0
	v_mad_co_u64_u32 v[3:4], null, s2, v7, v[1:2]
	v_and_b32_e32 v1, 1, v9
	v_mul_lo_u32 v6, s2, v8
	v_mul_lo_u32 v10, s3, v7
	s_delay_alu instid0(VALU_DEP_3) | instskip(NEXT) | instid1(VALU_DEP_2)
	v_cmp_eq_u32_e32 vcc_lo, 1, v1
	v_add3_u32 v4, v10, v4, v6
	s_wait_alu 0xfffd
	v_cndmask_b32_e64 v2, 0, 0x2d7, vcc_lo
	v_cmp_gt_u64_e32 vcc_lo, s[0:1], v[7:8]
	s_delay_alu instid0(VALU_DEP_3) | instskip(NEXT) | instid1(VALU_DEP_3)
	v_lshlrev_b64_e32 v[50:51], 4, v[3:4]
	v_lshlrev_b32_e32 v54, 4, v2
	s_and_saveexec_b32 s1, vcc_lo
	s_cbranch_execz .LBB0_13
; %bb.10:
	v_mov_b32_e32 v49, 0
	s_delay_alu instid0(VALU_DEP_3) | instskip(SKIP_2) | instid1(VALU_DEP_3)
	v_add_co_u32 v0, s0, s8, v50
	s_wait_alu 0xf1ff
	v_add_co_ci_u32_e64 v1, s0, s9, v51, s0
	v_lshlrev_b64_e32 v[3:4], 4, v[48:49]
	s_mov_b32 s2, exec_lo
	s_delay_alu instid0(VALU_DEP_1) | instskip(SKIP_1) | instid1(VALU_DEP_2)
	v_add_co_u32 v44, s0, v0, v3
	s_wait_alu 0xf1ff
	v_add_co_ci_u32_e64 v45, s0, v1, v4, s0
	v_lshlrev_b32_e32 v3, 4, v48
	s_clause 0xa
	global_load_b128 v[4:7], v[44:45], off
	global_load_b128 v[8:11], v[44:45], off offset:1056
	global_load_b128 v[12:15], v[44:45], off offset:2112
	;; [unrolled: 1-line block ×10, first 2 shown]
	v_add3_u32 v3, 0, v54, v3
	s_wait_loadcnt 0xa
	ds_store_b128 v3, v[4:7]
	s_wait_loadcnt 0x9
	ds_store_b128 v3, v[8:11] offset:1056
	s_wait_loadcnt 0x8
	ds_store_b128 v3, v[12:15] offset:2112
	;; [unrolled: 2-line block ×10, first 2 shown]
	v_cmpx_eq_u32_e32 0x41, v48
	s_cbranch_execz .LBB0_12
; %bb.11:
	global_load_b128 v[4:7], v[0:1], off offset:11616
	v_mov_b32_e32 v48, 0x41
	s_wait_loadcnt 0x0
	ds_store_b128 v3, v[4:7] offset:10576
.LBB0_12:
	s_wait_alu 0xfffe
	s_or_b32 exec_lo, exec_lo, s2
.LBB0_13:
	s_wait_alu 0xfffe
	s_or_b32 exec_lo, exec_lo, s1
	v_lshl_add_u32 v52, v2, 4, 0
	v_lshlrev_b32_e32 v10, 4, v48
	global_wb scope:SCOPE_SE
	s_wait_dscnt 0x0
	s_barrier_signal -1
	s_barrier_wait -1
	global_inv scope:SCOPE_SE
	v_add_nc_u32_e32 v53, v52, v10
	v_sub_nc_u32_e32 v11, v52, v10
	s_mov_b32 s1, exec_lo
                                        ; implicit-def: $vgpr4_vgpr5
	ds_load_b64 v[6:7], v53
	ds_load_b64 v[8:9], v11 offset:11616
	s_wait_dscnt 0x0
	v_add_f64_e32 v[0:1], v[6:7], v[8:9]
	v_add_f64_e64 v[2:3], v[6:7], -v[8:9]
	v_cmpx_ne_u32_e32 0, v48
	s_wait_alu 0xfffe
	s_xor_b32 s1, exec_lo, s1
	s_cbranch_execz .LBB0_15
; %bb.14:
	v_mov_b32_e32 v49, 0
	v_add_f64_e32 v[14:15], v[6:7], v[8:9]
	v_add_f64_e64 v[16:17], v[6:7], -v[8:9]
	s_delay_alu instid0(VALU_DEP_3) | instskip(NEXT) | instid1(VALU_DEP_1)
	v_lshlrev_b64_e32 v[0:1], 4, v[48:49]
	v_add_co_u32 v0, s0, s4, v0
	s_wait_alu 0xf1ff
	s_delay_alu instid0(VALU_DEP_2)
	v_add_co_ci_u32_e64 v1, s0, s5, v1, s0
	global_load_b128 v[2:5], v[0:1], off offset:11440
	ds_load_b64 v[0:1], v11 offset:11624
	ds_load_b64 v[12:13], v53 offset:8
	s_wait_dscnt 0x0
	v_add_f64_e32 v[6:7], v[0:1], v[12:13]
	v_add_f64_e64 v[0:1], v[12:13], -v[0:1]
	s_wait_loadcnt 0x0
	v_fma_f64 v[8:9], v[16:17], v[4:5], v[14:15]
	v_fma_f64 v[12:13], -v[16:17], v[4:5], v[14:15]
	s_delay_alu instid0(VALU_DEP_3) | instskip(SKIP_1) | instid1(VALU_DEP_4)
	v_fma_f64 v[14:15], v[6:7], v[4:5], -v[0:1]
	v_fma_f64 v[4:5], v[6:7], v[4:5], v[0:1]
	v_fma_f64 v[0:1], -v[6:7], v[2:3], v[8:9]
	s_delay_alu instid0(VALU_DEP_4) | instskip(NEXT) | instid1(VALU_DEP_4)
	v_fma_f64 v[6:7], v[6:7], v[2:3], v[12:13]
	v_fma_f64 v[8:9], v[16:17], v[2:3], v[14:15]
	s_delay_alu instid0(VALU_DEP_4)
	v_fma_f64 v[2:3], v[16:17], v[2:3], v[4:5]
	v_dual_mov_b32 v4, v48 :: v_dual_mov_b32 v5, v49
	ds_store_b128 v11, v[6:9] offset:11616
.LBB0_15:
	s_wait_alu 0xfffe
	s_and_not1_saveexec_b32 s0, s1
	s_cbranch_execz .LBB0_17
; %bb.16:
	ds_load_b128 v[4:7], v52 offset:5808
	s_wait_dscnt 0x0
	v_add_f64_e32 v[12:13], v[4:5], v[4:5]
	v_mul_f64_e32 v[14:15], -2.0, v[6:7]
	v_mov_b32_e32 v4, 0
	v_mov_b32_e32 v5, 0
	ds_store_b128 v52, v[12:15] offset:5808
.LBB0_17:
	s_wait_alu 0xfffe
	s_or_b32 exec_lo, exec_lo, s0
	v_lshlrev_b64_e32 v[4:5], 4, v[4:5]
	s_add_nc_u64 s[0:1], s[4:5], 0x2cb0
	s_wait_alu 0xfffe
	s_delay_alu instid0(VALU_DEP_1) | instskip(SKIP_1) | instid1(VALU_DEP_2)
	v_add_co_u32 v4, s0, s0, v4
	s_wait_alu 0xf1ff
	v_add_co_ci_u32_e64 v5, s0, s1, v5, s0
	s_mov_b32 s1, exec_lo
	s_clause 0x1
	global_load_b128 v[6:9], v[4:5], off offset:1056
	global_load_b128 v[12:15], v[4:5], off offset:2112
	ds_store_b128 v53, v[0:3]
	ds_load_b128 v[0:3], v53 offset:1056
	ds_load_b128 v[16:19], v11 offset:10560
	global_load_b128 v[20:23], v[4:5], off offset:3168
	s_wait_dscnt 0x0
	v_add_f64_e32 v[24:25], v[0:1], v[16:17]
	v_add_f64_e32 v[26:27], v[18:19], v[2:3]
	v_add_f64_e64 v[28:29], v[0:1], -v[16:17]
	v_add_f64_e64 v[0:1], v[2:3], -v[18:19]
	s_wait_loadcnt 0x2
	s_delay_alu instid0(VALU_DEP_2) | instskip(NEXT) | instid1(VALU_DEP_2)
	v_fma_f64 v[2:3], v[28:29], v[8:9], v[24:25]
	v_fma_f64 v[16:17], v[26:27], v[8:9], v[0:1]
	v_fma_f64 v[18:19], -v[28:29], v[8:9], v[24:25]
	v_fma_f64 v[8:9], v[26:27], v[8:9], -v[0:1]
	s_delay_alu instid0(VALU_DEP_4) | instskip(NEXT) | instid1(VALU_DEP_4)
	v_fma_f64 v[0:1], -v[26:27], v[6:7], v[2:3]
	v_fma_f64 v[2:3], v[28:29], v[6:7], v[16:17]
	s_delay_alu instid0(VALU_DEP_4) | instskip(NEXT) | instid1(VALU_DEP_4)
	v_fma_f64 v[16:17], v[26:27], v[6:7], v[18:19]
	v_fma_f64 v[18:19], v[28:29], v[6:7], v[8:9]
	ds_store_b128 v53, v[0:3] offset:1056
	ds_store_b128 v11, v[16:19] offset:10560
	ds_load_b128 v[0:3], v53 offset:2112
	ds_load_b128 v[6:9], v11 offset:9504
	global_load_b128 v[16:19], v[4:5], off offset:4224
	s_wait_dscnt 0x0
	v_add_f64_e32 v[24:25], v[0:1], v[6:7]
	v_add_f64_e32 v[26:27], v[8:9], v[2:3]
	v_add_f64_e64 v[28:29], v[0:1], -v[6:7]
	v_add_f64_e64 v[0:1], v[2:3], -v[8:9]
	s_wait_loadcnt 0x2
	s_delay_alu instid0(VALU_DEP_2) | instskip(NEXT) | instid1(VALU_DEP_2)
	v_fma_f64 v[2:3], v[28:29], v[14:15], v[24:25]
	v_fma_f64 v[6:7], v[26:27], v[14:15], v[0:1]
	v_fma_f64 v[8:9], -v[28:29], v[14:15], v[24:25]
	v_fma_f64 v[14:15], v[26:27], v[14:15], -v[0:1]
	s_delay_alu instid0(VALU_DEP_4) | instskip(NEXT) | instid1(VALU_DEP_4)
	v_fma_f64 v[0:1], -v[26:27], v[12:13], v[2:3]
	v_fma_f64 v[2:3], v[28:29], v[12:13], v[6:7]
	s_delay_alu instid0(VALU_DEP_4) | instskip(NEXT) | instid1(VALU_DEP_4)
	v_fma_f64 v[6:7], v[26:27], v[12:13], v[8:9]
	v_fma_f64 v[8:9], v[28:29], v[12:13], v[14:15]
	ds_store_b128 v53, v[0:3] offset:2112
	ds_store_b128 v11, v[6:9] offset:9504
	ds_load_b128 v[0:3], v53 offset:3168
	ds_load_b128 v[6:9], v11 offset:8448
	s_wait_dscnt 0x0
	v_add_f64_e32 v[12:13], v[0:1], v[6:7]
	v_add_f64_e32 v[14:15], v[8:9], v[2:3]
	v_add_f64_e64 v[24:25], v[0:1], -v[6:7]
	v_add_f64_e64 v[0:1], v[2:3], -v[8:9]
	s_wait_loadcnt 0x1
	s_delay_alu instid0(VALU_DEP_2) | instskip(NEXT) | instid1(VALU_DEP_2)
	v_fma_f64 v[2:3], v[24:25], v[22:23], v[12:13]
	v_fma_f64 v[6:7], v[14:15], v[22:23], v[0:1]
	v_fma_f64 v[8:9], -v[24:25], v[22:23], v[12:13]
	v_fma_f64 v[12:13], v[14:15], v[22:23], -v[0:1]
	s_delay_alu instid0(VALU_DEP_4) | instskip(NEXT) | instid1(VALU_DEP_4)
	v_fma_f64 v[0:1], -v[14:15], v[20:21], v[2:3]
	v_fma_f64 v[2:3], v[24:25], v[20:21], v[6:7]
	s_delay_alu instid0(VALU_DEP_4) | instskip(NEXT) | instid1(VALU_DEP_4)
	v_fma_f64 v[6:7], v[14:15], v[20:21], v[8:9]
	v_fma_f64 v[8:9], v[24:25], v[20:21], v[12:13]
	ds_store_b128 v53, v[0:3] offset:3168
	ds_store_b128 v11, v[6:9] offset:8448
	ds_load_b128 v[0:3], v53 offset:4224
	ds_load_b128 v[6:9], v11 offset:7392
	s_wait_dscnt 0x0
	v_add_f64_e32 v[12:13], v[0:1], v[6:7]
	v_add_f64_e32 v[14:15], v[8:9], v[2:3]
	v_add_f64_e64 v[20:21], v[0:1], -v[6:7]
	v_add_f64_e64 v[0:1], v[2:3], -v[8:9]
	s_wait_loadcnt 0x0
	s_delay_alu instid0(VALU_DEP_2) | instskip(NEXT) | instid1(VALU_DEP_2)
	v_fma_f64 v[2:3], v[20:21], v[18:19], v[12:13]
	v_fma_f64 v[6:7], v[14:15], v[18:19], v[0:1]
	v_fma_f64 v[8:9], -v[20:21], v[18:19], v[12:13]
	v_fma_f64 v[12:13], v[14:15], v[18:19], -v[0:1]
	s_delay_alu instid0(VALU_DEP_4) | instskip(NEXT) | instid1(VALU_DEP_4)
	v_fma_f64 v[0:1], -v[14:15], v[16:17], v[2:3]
	v_fma_f64 v[2:3], v[20:21], v[16:17], v[6:7]
	s_delay_alu instid0(VALU_DEP_4) | instskip(NEXT) | instid1(VALU_DEP_4)
	v_fma_f64 v[6:7], v[14:15], v[16:17], v[8:9]
	v_fma_f64 v[8:9], v[20:21], v[16:17], v[12:13]
	ds_store_b128 v53, v[0:3] offset:4224
	ds_store_b128 v11, v[6:9] offset:7392
	v_cmpx_gt_u32_e32 33, v48
	s_cbranch_execz .LBB0_19
; %bb.18:
	global_load_b128 v[0:3], v[4:5], off offset:5280
	ds_load_b128 v[4:7], v53 offset:5280
	ds_load_b128 v[12:15], v11 offset:6336
	s_wait_dscnt 0x0
	v_add_f64_e32 v[8:9], v[4:5], v[12:13]
	v_add_f64_e32 v[16:17], v[14:15], v[6:7]
	v_add_f64_e64 v[12:13], v[4:5], -v[12:13]
	v_add_f64_e64 v[4:5], v[6:7], -v[14:15]
	s_wait_loadcnt 0x0
	s_delay_alu instid0(VALU_DEP_2) | instskip(NEXT) | instid1(VALU_DEP_2)
	v_fma_f64 v[6:7], v[12:13], v[2:3], v[8:9]
	v_fma_f64 v[14:15], v[16:17], v[2:3], v[4:5]
	v_fma_f64 v[8:9], -v[12:13], v[2:3], v[8:9]
	v_fma_f64 v[18:19], v[16:17], v[2:3], -v[4:5]
	s_delay_alu instid0(VALU_DEP_4) | instskip(NEXT) | instid1(VALU_DEP_4)
	v_fma_f64 v[2:3], -v[16:17], v[0:1], v[6:7]
	v_fma_f64 v[4:5], v[12:13], v[0:1], v[14:15]
	s_delay_alu instid0(VALU_DEP_4) | instskip(NEXT) | instid1(VALU_DEP_4)
	v_fma_f64 v[6:7], v[16:17], v[0:1], v[8:9]
	v_fma_f64 v[8:9], v[12:13], v[0:1], v[18:19]
	ds_store_b128 v53, v[2:5] offset:5280
	ds_store_b128 v11, v[6:9] offset:6336
.LBB0_19:
	s_wait_alu 0xfffe
	s_or_b32 exec_lo, exec_lo, s1
	v_add3_u32 v49, 0, v10, v54
	global_wb scope:SCOPE_SE
	s_wait_dscnt 0x0
	s_barrier_signal -1
	s_barrier_wait -1
	global_inv scope:SCOPE_SE
	global_wb scope:SCOPE_SE
	s_barrier_signal -1
	s_barrier_wait -1
	global_inv scope:SCOPE_SE
	ds_load_b128 v[4:7], v53
	ds_load_b128 v[16:19], v49 offset:1056
	ds_load_b128 v[0:3], v49 offset:10560
	;; [unrolled: 1-line block ×9, first 2 shown]
	s_mov_b32 s0, 0xf8bb580b
	s_mov_b32 s2, 0x8eee2c13
	;; [unrolled: 1-line block ×15, first 2 shown]
	s_wait_dscnt 0x8
	v_add_f64_e32 v[22:23], v[4:5], v[16:17]
	v_add_f64_e32 v[44:45], v[6:7], v[18:19]
	s_wait_dscnt 0x7
	v_add_f64_e64 v[46:47], v[18:19], -v[2:3]
	v_add_f64_e32 v[55:56], v[18:19], v[2:3]
	s_wait_dscnt 0x5
	v_add_f64_e64 v[57:58], v[26:27], -v[10:11]
	s_wait_dscnt 0x3
	v_add_f64_e64 v[61:62], v[30:31], -v[14:15]
	v_add_f64_e32 v[69:70], v[30:31], v[14:15]
	v_add_f64_e32 v[81:82], v[28:29], v[12:13]
	v_add_f64_e64 v[85:86], v[28:29], -v[12:13]
	s_mov_b32 s21, 0xbfe4f49e
	s_mov_b32 s12, 0xfd768dbf
	;; [unrolled: 1-line block ×3, first 2 shown]
	v_add_f64_e32 v[63:64], v[16:17], v[0:1]
	v_add_f64_e64 v[65:66], v[16:17], -v[0:1]
	s_mov_b32 s13, 0xbfd207e7
	s_mov_b32 s35, 0xbfeeb42a
	;; [unrolled: 1-line block ×5, first 2 shown]
	s_wait_alu 0xfffe
	s_mov_b32 s22, s0
	s_mov_b32 s28, s10
	s_mov_b32 s26, s12
	v_add_f64_e32 v[83:84], v[24:25], v[8:9]
	ds_load_b128 v[18:21], v49 offset:7392
	s_mov_b32 s25, 0x3fed1bb4
	s_mov_b32 s24, s2
	;; [unrolled: 1-line block ×4, first 2 shown]
	s_wait_dscnt 0x1
	v_add_f64_e32 v[16:17], v[36:37], v[40:41]
	v_add_f64_e32 v[67:68], v[38:39], v[42:43]
	v_add_f64_e64 v[71:72], v[38:39], -v[42:43]
	global_wb scope:SCOPE_SE
	s_wait_dscnt 0x0
	s_barrier_signal -1
	s_barrier_wait -1
	global_inv scope:SCOPE_SE
	v_add_f64_e32 v[59:60], v[22:23], v[24:25]
	v_add_f64_e32 v[44:45], v[44:45], v[26:27]
	v_add_f64_e32 v[26:27], v[26:27], v[10:11]
	v_mul_f64_e32 v[87:88], s[0:1], v[46:47]
	v_mul_f64_e32 v[91:92], s[2:3], v[46:47]
	v_mul_f64_e32 v[93:94], s[14:15], v[55:56]
	v_mul_f64_e32 v[95:96], s[10:11], v[46:47]
	v_mul_f64_e32 v[97:98], s[18:19], v[55:56]
	v_mul_f64_e32 v[89:90], s[6:7], v[55:56]
	v_mul_f64_e32 v[99:100], s[16:17], v[46:47]
	v_mul_f64_e32 v[101:102], s[20:21], v[55:56]
	v_mul_f64_e32 v[46:47], s[12:13], v[46:47]
	v_mul_f64_e32 v[55:56], s[34:35], v[55:56]
	v_add_f64_e64 v[24:25], v[24:25], -v[8:9]
	v_mul_f64_e32 v[103:104], s[2:3], v[57:58]
	v_mul_f64_e32 v[105:106], s[16:17], v[57:58]
	s_wait_alu 0xfffe
	v_mul_f64_e32 v[107:108], s[26:27], v[57:58]
	v_add_f64_e32 v[73:74], v[32:33], v[18:19]
	v_add_f64_e32 v[75:76], v[34:35], v[20:21]
	v_add_f64_e64 v[77:78], v[34:35], -v[20:21]
	v_add_f64_e64 v[79:80], v[32:33], -v[18:19]
	v_mul_f64_e32 v[109:110], s[10:11], v[61:62]
	v_mul_f64_e32 v[117:118], s[26:27], v[61:62]
	;; [unrolled: 1-line block ×10, first 2 shown]
	v_add_f64_e64 v[22:23], v[36:37], -v[40:41]
	v_mul_f64_e32 v[147:148], s[12:13], v[71:72]
	v_mul_f64_e32 v[149:150], s[22:23], v[71:72]
	;; [unrolled: 1-line block ×5, first 2 shown]
	v_add_f64_e32 v[28:29], v[59:60], v[28:29]
	v_add_f64_e32 v[30:31], v[44:45], v[30:31]
	v_mul_f64_e32 v[44:45], s[28:29], v[57:58]
	v_mul_f64_e32 v[59:60], s[14:15], v[26:27]
	;; [unrolled: 1-line block ×7, first 2 shown]
	v_fma_f64 v[155:156], v[63:64], s[6:7], v[87:88]
	v_fma_f64 v[87:88], v[63:64], s[6:7], -v[87:88]
	v_fma_f64 v[159:160], v[63:64], s[18:19], v[95:96]
	v_fma_f64 v[161:162], v[65:66], s[28:29], v[97:98]
	;; [unrolled: 1-line block ×4, first 2 shown]
	v_fma_f64 v[95:96], v[63:64], s[18:19], -v[95:96]
	v_fma_f64 v[163:164], v[63:64], s[20:21], v[99:100]
	v_fma_f64 v[165:166], v[65:66], s[30:31], v[101:102]
	v_fma_f64 v[99:100], v[63:64], s[20:21], -v[99:100]
	v_fma_f64 v[167:168], v[63:64], s[34:35], v[46:47]
	v_fma_f64 v[169:170], v[65:66], s[26:27], v[55:56]
	;; [unrolled: 1-line block ×4, first 2 shown]
	v_fma_f64 v[46:47], v[63:64], s[34:35], -v[46:47]
	v_fma_f64 v[55:56], v[65:66], s[12:13], v[55:56]
	v_fma_f64 v[171:172], v[83:84], s[34:35], v[107:108]
	v_fma_f64 v[107:108], v[83:84], s[34:35], -v[107:108]
	v_mul_f64_e32 v[131:132], s[16:17], v[77:78]
	v_mul_f64_e32 v[133:134], s[28:29], v[77:78]
	;; [unrolled: 1-line block ×7, first 2 shown]
	v_fma_f64 v[185:186], v[81:82], s[6:7], v[121:122]
	v_fma_f64 v[121:122], v[81:82], s[6:7], -v[121:122]
	v_fma_f64 v[187:188], v[81:82], s[20:21], v[61:62]
	v_fma_f64 v[61:62], v[81:82], s[20:21], -v[61:62]
	v_add_f64_e32 v[28:29], v[28:29], v[32:33]
	v_add_f64_e32 v[30:31], v[30:31], v[34:35]
	v_fma_f64 v[32:33], v[63:64], s[14:15], v[91:92]
	v_fma_f64 v[34:35], v[65:66], s[24:25], v[93:94]
	v_fma_f64 v[91:92], v[63:64], s[14:15], -v[91:92]
	v_fma_f64 v[93:94], v[65:66], s[2:3], v[93:94]
	v_fma_f64 v[63:64], v[83:84], s[14:15], -v[103:104]
	v_fma_f64 v[65:66], v[83:84], s[14:15], v[103:104]
	v_fma_f64 v[103:104], v[83:84], s[20:21], v[105:106]
	v_fma_f64 v[105:106], v[83:84], s[20:21], -v[105:106]
	v_fma_f64 v[173:174], v[83:84], s[18:19], v[44:45]
	v_fma_f64 v[44:45], v[83:84], s[18:19], -v[44:45]
	;; [unrolled: 2-line block ×3, first 2 shown]
	v_fma_f64 v[83:84], v[24:25], s[2:3], v[59:60]
	v_fma_f64 v[59:60], v[24:25], s[24:25], v[59:60]
	;; [unrolled: 1-line block ×10, first 2 shown]
	v_add_f64_e32 v[87:88], v[4:5], v[87:88]
	v_add_f64_e32 v[155:156], v[4:5], v[155:156]
	v_add_f64_e32 v[159:160], v[4:5], v[159:160]
	v_add_f64_e32 v[161:162], v[6:7], v[161:162]
	v_add_f64_e32 v[89:90], v[6:7], v[89:90]
	v_add_f64_e32 v[95:96], v[4:5], v[95:96]
	v_add_f64_e32 v[163:164], v[4:5], v[163:164]
	v_add_f64_e32 v[165:166], v[6:7], v[165:166]
	v_add_f64_e32 v[99:100], v[4:5], v[99:100]
	v_add_f64_e32 v[167:168], v[4:5], v[167:168]
	v_add_f64_e32 v[169:170], v[6:7], v[169:170]
	v_add_f64_e32 v[157:158], v[6:7], v[157:158]
	v_add_f64_e32 v[97:98], v[6:7], v[97:98]
	v_add_f64_e32 v[101:102], v[6:7], v[101:102]
	v_add_f64_e32 v[26:27], v[28:29], v[36:37]
	v_add_f64_e32 v[28:29], v[30:31], v[38:39]
	v_add_f64_e32 v[32:33], v[4:5], v[32:33]
	v_add_f64_e32 v[34:35], v[6:7], v[34:35]
	v_add_f64_e32 v[91:92], v[4:5], v[91:92]
	v_add_f64_e32 v[93:94], v[6:7], v[93:94]
	v_add_f64_e32 v[4:5], v[4:5], v[46:47]
	v_add_f64_e32 v[6:7], v[6:7], v[55:56]
	v_fma_f64 v[30:31], v[81:82], s[18:19], -v[109:110]
	v_fma_f64 v[36:37], v[81:82], s[18:19], v[109:110]
	v_fma_f64 v[38:39], v[81:82], s[34:35], v[117:118]
	;; [unrolled: 1-line block ×3, first 2 shown]
	v_fma_f64 v[109:110], v[81:82], s[34:35], -v[117:118]
	v_fma_f64 v[117:118], v[81:82], s[14:15], v[119:120]
	v_fma_f64 v[55:56], v[85:86], s[26:27], v[125:126]
	;; [unrolled: 1-line block ×3, first 2 shown]
	v_fma_f64 v[119:120], v[81:82], s[14:15], -v[119:120]
	v_fma_f64 v[81:82], v[85:86], s[10:11], v[123:124]
	v_mul_f64_e32 v[77:78], s[24:25], v[77:78]
	v_mul_f64_e32 v[139:140], s[20:21], v[75:76]
	;; [unrolled: 1-line block ×3, first 2 shown]
	v_fma_f64 v[127:128], v[85:86], s[24:25], v[127:128]
	v_fma_f64 v[123:124], v[85:86], s[28:29], v[123:124]
	v_add_f64_e32 v[63:64], v[63:64], v[87:88]
	v_add_f64_e32 v[65:66], v[65:66], v[155:156]
	;; [unrolled: 1-line block ×12, first 2 shown]
	v_mul_f64_e32 v[155:156], s[6:7], v[67:68]
	v_mul_f64_e32 v[87:88], s[14:15], v[67:68]
	v_add_f64_e32 v[26:27], v[26:27], v[40:41]
	v_add_f64_e32 v[28:29], v[28:29], v[42:43]
	;; [unrolled: 1-line block ×5, first 2 shown]
	v_fma_f64 v[40:41], v[85:86], s[22:23], v[129:130]
	v_fma_f64 v[42:43], v[85:86], s[0:1], v[129:130]
	;; [unrolled: 1-line block ×4, first 2 shown]
	v_add_f64_e32 v[4:5], v[57:58], v[4:5]
	v_add_f64_e32 v[6:7], v[24:25], v[6:7]
	;; [unrolled: 1-line block ×5, first 2 shown]
	v_fma_f64 v[103:104], v[73:74], s[20:21], -v[131:132]
	v_fma_f64 v[131:132], v[73:74], s[20:21], v[131:132]
	v_fma_f64 v[177:178], v[73:74], s[18:19], v[133:134]
	;; [unrolled: 1-line block ×3, first 2 shown]
	v_mul_f64_e32 v[85:86], s[20:21], v[67:68]
	v_fma_f64 v[133:134], v[73:74], s[18:19], -v[133:134]
	v_fma_f64 v[105:106], v[73:74], s[6:7], v[135:136]
	v_fma_f64 v[111:112], v[79:80], s[22:23], v[143:144]
	;; [unrolled: 1-line block ×4, first 2 shown]
	v_add_f64_e32 v[30:31], v[30:31], v[63:64]
	v_add_f64_e32 v[36:37], v[36:37], v[65:66]
	v_mul_f64_e32 v[89:90], s[18:19], v[67:68]
	v_add_f64_e32 v[65:66], v[125:126], v[161:162]
	v_add_f64_e32 v[63:64], v[81:82], v[83:84]
	v_mul_f64_e32 v[67:68], s[34:35], v[67:68]
	v_add_f64_e32 v[83:84], v[185:186], v[107:108]
	v_fma_f64 v[135:136], v[73:74], s[6:7], -v[135:136]
	v_fma_f64 v[137:138], v[73:74], s[34:35], -v[137:138]
	v_fma_f64 v[101:102], v[79:80], s[28:29], v[141:142]
	v_fma_f64 v[141:142], v[79:80], s[2:3], v[75:76]
	v_add_f64_e32 v[81:82], v[119:120], v[95:96]
	v_fma_f64 v[75:76], v[79:80], s[24:25], v[75:76]
	v_add_f64_e32 v[44:45], v[121:122], v[44:45]
	v_add_f64_e32 v[18:19], v[26:27], v[18:19]
	;; [unrolled: 1-line block ×8, first 2 shown]
	v_fma_f64 v[26:27], v[73:74], s[14:15], v[77:78]
	v_fma_f64 v[28:29], v[73:74], s[14:15], -v[77:78]
	v_fma_f64 v[73:74], v[79:80], s[16:17], v[139:140]
	v_add_f64_e32 v[91:92], v[187:188], v[99:100]
	v_add_f64_e32 v[95:96], v[129:130], v[165:166]
	;; [unrolled: 1-line block ×4, first 2 shown]
	v_fma_f64 v[77:78], v[79:80], s[30:31], v[139:140]
	v_fma_f64 v[139:140], v[79:80], s[12:13], v[145:146]
	v_add_f64_e32 v[24:25], v[42:43], v[24:25]
	v_fma_f64 v[113:114], v[79:80], s[0:1], v[143:144]
	v_add_f64_e32 v[42:43], v[127:128], v[57:58]
	v_add_f64_e32 v[55:56], v[55:56], v[93:94]
	;; [unrolled: 1-line block ×3, first 2 shown]
	v_fma_f64 v[79:80], v[16:17], s[34:35], -v[147:148]
	v_fma_f64 v[143:144], v[16:17], s[34:35], v[147:148]
	v_fma_f64 v[145:146], v[16:17], s[6:7], v[149:150]
	v_fma_f64 v[147:148], v[16:17], s[6:7], -v[149:150]
	v_fma_f64 v[59:60], v[16:17], s[20:21], v[151:152]
	v_fma_f64 v[61:62], v[16:17], s[20:21], -v[151:152]
	;; [unrolled: 2-line block ×4, first 2 shown]
	v_add_f64_e32 v[16:17], v[103:104], v[30:31]
	v_add_f64_e32 v[30:31], v[131:132], v[36:37]
	v_fma_f64 v[107:108], v[22:23], s[30:31], v[85:86]
	v_fma_f64 v[109:110], v[22:23], s[2:3], v[87:88]
	;; [unrolled: 1-line block ×5, first 2 shown]
	v_add_f64_e32 v[12:13], v[18:19], v[12:13]
	v_add_f64_e32 v[14:15], v[20:21], v[14:15]
	v_fma_f64 v[20:21], v[22:23], s[0:1], v[155:156]
	v_add_f64_e32 v[32:33], v[177:178], v[32:33]
	v_add_f64_e32 v[34:35], v[97:98], v[34:35]
	;; [unrolled: 1-line block ×7, first 2 shown]
	v_fma_f64 v[89:90], v[22:23], s[10:11], v[89:90]
	v_fma_f64 v[119:120], v[22:23], s[22:23], v[155:156]
	v_fma_f64 v[18:19], v[22:23], s[12:13], v[67:68]
	v_fma_f64 v[67:68], v[22:23], s[26:27], v[67:68]
	v_add_f64_e32 v[22:23], v[73:74], v[63:64]
	v_add_f64_e32 v[26:27], v[26:27], v[91:92]
	;; [unrolled: 1-line block ×11, first 2 shown]
	v_cmp_gt_u32_e64 s0, 55, v48
	v_add_f64_e32 v[16:17], v[79:80], v[16:17]
	v_add_f64_e32 v[24:25], v[143:144], v[30:31]
	;; [unrolled: 1-line block ×22, first 2 shown]
	v_mad_u32_u24 v44, 0xa0, v48, v49
	v_add_f64_e32 v[0:1], v[77:78], v[0:1]
	v_add_f64_e32 v[2:3], v[83:84], v[2:3]
	ds_store_b128 v44, v[28:31] offset:32
	ds_store_b128 v44, v[32:35] offset:48
	;; [unrolled: 1-line block ×10, first 2 shown]
	ds_store_b128 v44, v[0:3]
	global_wb scope:SCOPE_SE
	s_wait_dscnt 0x0
	s_barrier_signal -1
	s_barrier_wait -1
	global_inv scope:SCOPE_SE
	ds_load_b128 v[24:27], v53
	ds_load_b128 v[28:31], v49 offset:1936
	ds_load_b128 v[32:35], v49 offset:3872
	;; [unrolled: 1-line block ×5, first 2 shown]
                                        ; implicit-def: $vgpr2_vgpr3
	s_and_saveexec_b32 s1, s0
	s_cbranch_execz .LBB0_21
; %bb.20:
	ds_load_b128 v[4:7], v49 offset:1056
	ds_load_b128 v[8:11], v49 offset:2992
	;; [unrolled: 1-line block ×6, first 2 shown]
.LBB0_21:
	s_wait_alu 0xfffe
	s_or_b32 exec_lo, exec_lo, s1
	v_and_b32_e32 v55, 0xff, v48
	s_mov_b32 s2, 0xe8584caa
	s_mov_b32 s3, 0xbfebb67a
	;; [unrolled: 1-line block ×3, first 2 shown]
	s_wait_alu 0xfffe
	s_mov_b32 s6, s2
	v_mul_lo_u16 v55, 0x75, v55
	s_delay_alu instid0(VALU_DEP_1) | instskip(NEXT) | instid1(VALU_DEP_1)
	v_lshrrev_b16 v55, 8, v55
	v_sub_nc_u16 v56, v48, v55
	s_delay_alu instid0(VALU_DEP_1) | instskip(NEXT) | instid1(VALU_DEP_1)
	v_lshrrev_b16 v56, 1, v56
	v_and_b32_e32 v56, 0x7f, v56
	s_delay_alu instid0(VALU_DEP_1) | instskip(NEXT) | instid1(VALU_DEP_1)
	v_add_nc_u16 v55, v56, v55
	v_lshrrev_b16 v81, 3, v55
	s_delay_alu instid0(VALU_DEP_1) | instskip(NEXT) | instid1(VALU_DEP_1)
	v_mul_lo_u16 v55, v81, 11
	v_sub_nc_u16 v55, v48, v55
	s_delay_alu instid0(VALU_DEP_1) | instskip(NEXT) | instid1(VALU_DEP_1)
	v_and_b32_e32 v82, 0xff, v55
	v_mul_u32_u24_e32 v55, 5, v82
	s_delay_alu instid0(VALU_DEP_1)
	v_lshlrev_b32_e32 v71, 4, v55
	s_clause 0x4
	global_load_b128 v[55:58], v71, s[4:5] offset:32
	global_load_b128 v[59:62], v71, s[4:5] offset:64
	global_load_b128 v[63:66], v71, s[4:5]
	global_load_b128 v[67:70], v71, s[4:5] offset:16
	global_load_b128 v[71:74], v71, s[4:5] offset:48
	global_wb scope:SCOPE_SE
	s_wait_loadcnt_dscnt 0x0
	s_barrier_signal -1
	s_barrier_wait -1
	global_inv scope:SCOPE_SE
	v_mul_f64_e32 v[75:76], v[40:41], v[57:58]
	v_mul_f64_e32 v[77:78], v[44:45], v[61:62]
	;; [unrolled: 1-line block ×6, first 2 shown]
	v_fma_f64 v[42:43], v[42:43], v[55:56], -v[75:76]
	v_fma_f64 v[46:47], v[46:47], v[59:60], -v[77:78]
	v_mul_f64_e32 v[75:76], v[34:35], v[69:70]
	v_mul_f64_e32 v[69:70], v[32:33], v[69:70]
	;; [unrolled: 1-line block ×4, first 2 shown]
	v_fma_f64 v[40:41], v[40:41], v[55:56], v[57:58]
	v_fma_f64 v[44:45], v[44:45], v[59:60], v[61:62]
	v_fma_f64 v[30:31], v[30:31], v[63:64], -v[79:80]
	v_fma_f64 v[28:29], v[28:29], v[63:64], v[65:66]
	v_add_f64_e32 v[55:56], v[42:43], v[46:47]
	v_fma_f64 v[32:33], v[32:33], v[67:68], v[75:76]
	v_fma_f64 v[34:35], v[34:35], v[67:68], -v[69:70]
	v_fma_f64 v[36:37], v[36:37], v[71:72], v[77:78]
	v_fma_f64 v[38:39], v[38:39], v[71:72], -v[73:74]
	v_add_f64_e64 v[65:66], v[42:43], -v[46:47]
	v_add_f64_e32 v[57:58], v[40:41], v[44:45]
	v_add_f64_e64 v[59:60], v[40:41], -v[44:45]
	v_fma_f64 v[55:56], v[55:56], -0.5, v[30:31]
	v_add_f64_e32 v[30:31], v[30:31], v[42:43]
	v_add_f64_e32 v[61:62], v[32:33], v[36:37]
	;; [unrolled: 1-line block ×3, first 2 shown]
	v_add_f64_e64 v[69:70], v[34:35], -v[38:39]
	v_fma_f64 v[57:58], v[57:58], -0.5, v[28:29]
	v_add_f64_e32 v[34:35], v[26:27], v[34:35]
	v_add_f64_e32 v[28:29], v[28:29], v[40:41]
	s_wait_alu 0xfffe
	v_fma_f64 v[67:68], v[59:60], s[6:7], v[55:56]
	v_fma_f64 v[55:56], v[59:60], s[2:3], v[55:56]
	v_add_f64_e32 v[59:60], v[24:25], v[32:33]
	v_add_f64_e64 v[32:33], v[32:33], -v[36:37]
	v_fma_f64 v[24:25], v[61:62], -0.5, v[24:25]
	v_fma_f64 v[26:27], v[63:64], -0.5, v[26:27]
	v_fma_f64 v[40:41], v[65:66], s[2:3], v[57:58]
	v_fma_f64 v[42:43], v[65:66], s[6:7], v[57:58]
	v_add_f64_e32 v[34:35], v[34:35], v[38:39]
	v_add_f64_e32 v[28:29], v[28:29], v[44:45]
	;; [unrolled: 1-line block ×3, first 2 shown]
	v_mul_f64_e32 v[57:58], s[2:3], v[67:68]
	v_mul_f64_e32 v[63:64], 0.5, v[67:68]
	v_mul_f64_e32 v[61:62], s[2:3], v[55:56]
	v_mul_f64_e32 v[55:56], -0.5, v[55:56]
	v_add_f64_e32 v[36:37], v[59:60], v[36:37]
	v_fma_f64 v[44:45], v[69:70], s[2:3], v[24:25]
	v_fma_f64 v[59:60], v[32:33], s[6:7], v[26:27]
	;; [unrolled: 1-line block ×4, first 2 shown]
	v_add_f64_e32 v[26:27], v[34:35], v[30:31]
	v_add_f64_e64 v[30:31], v[34:35], -v[30:31]
	v_fma_f64 v[57:58], v[40:41], 0.5, v[57:58]
	v_fma_f64 v[63:64], v[40:41], s[6:7], v[63:64]
	v_fma_f64 v[61:62], v[42:43], -0.5, v[61:62]
	v_fma_f64 v[55:56], v[42:43], s[6:7], v[55:56]
	v_add_f64_e32 v[24:25], v[36:37], v[28:29]
	v_add_f64_e64 v[28:29], v[36:37], -v[28:29]
	v_add_f64_e32 v[32:33], v[44:45], v[57:58]
	v_add_f64_e32 v[34:35], v[59:60], v[63:64]
	;; [unrolled: 1-line block ×4, first 2 shown]
	v_add_f64_e64 v[40:41], v[44:45], -v[57:58]
	v_add_f64_e64 v[42:43], v[59:60], -v[63:64]
	;; [unrolled: 1-line block ×4, first 2 shown]
	v_and_b32_e32 v55, 0xffff, v81
	v_lshlrev_b32_e32 v56, 4, v82
	s_delay_alu instid0(VALU_DEP_2) | instskip(NEXT) | instid1(VALU_DEP_1)
	v_mad_u32_u24 v55, 0x420, v55, 0
	v_add3_u32 v55, v55, v56, v54
	ds_store_b128 v55, v[24:27]
	ds_store_b128 v55, v[32:35] offset:176
	ds_store_b128 v55, v[36:39] offset:352
	;; [unrolled: 1-line block ×5, first 2 shown]
	s_and_saveexec_b32 s1, s0
	s_cbranch_execz .LBB0_23
; %bb.22:
	v_add_nc_u16 v24, v48, 0x42
	s_delay_alu instid0(VALU_DEP_1) | instskip(NEXT) | instid1(VALU_DEP_1)
	v_and_b32_e32 v25, 0xff, v24
	v_mul_lo_u16 v25, 0x75, v25
	s_delay_alu instid0(VALU_DEP_1) | instskip(NEXT) | instid1(VALU_DEP_1)
	v_lshrrev_b16 v25, 8, v25
	v_sub_nc_u16 v26, v24, v25
	s_delay_alu instid0(VALU_DEP_1) | instskip(NEXT) | instid1(VALU_DEP_1)
	v_lshrrev_b16 v26, 1, v26
	v_and_b32_e32 v26, 0x7f, v26
	s_delay_alu instid0(VALU_DEP_1) | instskip(NEXT) | instid1(VALU_DEP_1)
	v_add_nc_u16 v25, v26, v25
	v_lshrrev_b16 v57, 3, v25
	s_delay_alu instid0(VALU_DEP_1) | instskip(NEXT) | instid1(VALU_DEP_1)
	v_mul_lo_u16 v25, v57, 11
	v_sub_nc_u16 v24, v24, v25
	s_delay_alu instid0(VALU_DEP_1) | instskip(NEXT) | instid1(VALU_DEP_1)
	v_and_b32_e32 v58, 0xff, v24
	v_mul_u32_u24_e32 v24, 5, v58
	s_delay_alu instid0(VALU_DEP_1)
	v_lshlrev_b32_e32 v40, 4, v24
	s_clause 0x4
	global_load_b128 v[24:27], v40, s[4:5] offset:32
	global_load_b128 v[28:31], v40, s[4:5] offset:64
	global_load_b128 v[32:35], v40, s[4:5]
	global_load_b128 v[36:39], v40, s[4:5] offset:16
	global_load_b128 v[40:43], v40, s[4:5] offset:48
	s_wait_loadcnt 0x4
	v_mul_f64_e32 v[44:45], v[20:21], v[26:27]
	s_wait_loadcnt 0x3
	v_mul_f64_e32 v[46:47], v[0:1], v[30:31]
	v_mul_f64_e32 v[26:27], v[22:23], v[26:27]
	;; [unrolled: 1-line block ×3, first 2 shown]
	s_wait_loadcnt 0x2
	v_mul_f64_e32 v[55:56], v[8:9], v[34:35]
	v_mul_f64_e32 v[34:35], v[10:11], v[34:35]
	v_fma_f64 v[22:23], v[22:23], v[24:25], -v[44:45]
	v_fma_f64 v[2:3], v[2:3], v[28:29], -v[46:47]
	s_wait_loadcnt 0x1
	v_mul_f64_e32 v[44:45], v[12:13], v[38:39]
	s_wait_loadcnt 0x0
	v_mul_f64_e32 v[46:47], v[16:17], v[42:43]
	v_mul_f64_e32 v[38:39], v[14:15], v[38:39]
	;; [unrolled: 1-line block ×3, first 2 shown]
	v_fma_f64 v[20:21], v[20:21], v[24:25], v[26:27]
	v_fma_f64 v[0:1], v[0:1], v[28:29], v[30:31]
	v_fma_f64 v[10:11], v[10:11], v[32:33], -v[55:56]
	v_fma_f64 v[8:9], v[8:9], v[32:33], v[34:35]
	v_add_f64_e32 v[24:25], v[22:23], v[2:3]
	v_fma_f64 v[14:15], v[14:15], v[36:37], -v[44:45]
	v_fma_f64 v[18:19], v[18:19], v[40:41], -v[46:47]
	v_fma_f64 v[12:13], v[12:13], v[36:37], v[38:39]
	v_fma_f64 v[16:17], v[16:17], v[40:41], v[42:43]
	v_add_f64_e64 v[32:33], v[22:23], -v[2:3]
	v_add_f64_e32 v[26:27], v[20:21], v[0:1]
	v_add_f64_e64 v[28:29], v[20:21], -v[0:1]
	v_fma_f64 v[24:25], v[24:25], -0.5, v[10:11]
	v_add_f64_e32 v[38:39], v[6:7], v[14:15]
	v_add_f64_e32 v[30:31], v[14:15], v[18:19]
	;; [unrolled: 1-line block ×4, first 2 shown]
	v_add_f64_e64 v[14:15], v[14:15], -v[18:19]
	v_fma_f64 v[26:27], v[26:27], -0.5, v[8:9]
	v_add_f64_e32 v[8:9], v[8:9], v[20:21]
	v_fma_f64 v[36:37], v[28:29], s[2:3], v[24:25]
	v_fma_f64 v[24:25], v[28:29], s[6:7], v[24:25]
	v_add_f64_e64 v[28:29], v[12:13], -v[16:17]
	v_add_f64_e32 v[12:13], v[4:5], v[12:13]
	v_fma_f64 v[6:7], v[30:31], -0.5, v[6:7]
	v_fma_f64 v[4:5], v[34:35], -0.5, v[4:5]
	v_fma_f64 v[20:21], v[32:33], s[6:7], v[26:27]
	v_fma_f64 v[26:27], v[32:33], s[2:3], v[26:27]
	v_add_f64_e32 v[18:19], v[38:39], v[18:19]
	v_add_f64_e32 v[10:11], v[10:11], v[2:3]
	;; [unrolled: 1-line block ×3, first 2 shown]
	v_mul_f64_e32 v[22:23], -0.5, v[36:37]
	v_mul_f64_e32 v[30:31], 0.5, v[24:25]
	v_mul_f64_e32 v[24:25], s[2:3], v[24:25]
	v_mul_f64_e32 v[32:33], s[2:3], v[36:37]
	v_add_f64_e32 v[12:13], v[12:13], v[16:17]
	v_fma_f64 v[16:17], v[28:29], s[2:3], v[6:7]
	v_fma_f64 v[28:29], v[28:29], s[6:7], v[6:7]
	;; [unrolled: 1-line block ×4, first 2 shown]
	v_add_f64_e32 v[6:7], v[18:19], v[10:11]
	v_add_f64_e64 v[2:3], v[18:19], -v[10:11]
	v_fma_f64 v[22:23], v[20:21], s[6:7], v[22:23]
	v_fma_f64 v[30:31], v[26:27], s[6:7], v[30:31]
	v_fma_f64 v[24:25], v[26:27], 0.5, v[24:25]
	v_fma_f64 v[26:27], v[20:21], -0.5, v[32:33]
	v_add_f64_e32 v[4:5], v[12:13], v[8:9]
	v_add_f64_e64 v[0:1], v[12:13], -v[8:9]
	v_add_f64_e64 v[10:11], v[16:17], -v[22:23]
	v_add_f64_e32 v[14:15], v[16:17], v[22:23]
	v_add_f64_e32 v[18:19], v[28:29], v[30:31]
	;; [unrolled: 1-line block ×4, first 2 shown]
	v_add_f64_e64 v[22:23], v[28:29], -v[30:31]
	v_add_f64_e64 v[20:21], v[36:37], -v[24:25]
	;; [unrolled: 1-line block ×3, first 2 shown]
	v_and_b32_e32 v24, 0xffff, v57
	v_lshlrev_b32_e32 v25, 4, v58
	s_delay_alu instid0(VALU_DEP_2) | instskip(NEXT) | instid1(VALU_DEP_1)
	v_mad_u32_u24 v24, 0x420, v24, 0
	v_add3_u32 v24, v24, v25, v54
	ds_store_b128 v24, v[4:7]
	ds_store_b128 v24, v[16:19] offset:176
	ds_store_b128 v24, v[12:15] offset:352
	;; [unrolled: 1-line block ×5, first 2 shown]
.LBB0_23:
	s_wait_alu 0xfffe
	s_or_b32 exec_lo, exec_lo, s1
	v_mul_u32_u24_e32 v0, 10, v48
	global_wb scope:SCOPE_SE
	s_wait_dscnt 0x0
	s_barrier_signal -1
	s_barrier_wait -1
	global_inv scope:SCOPE_SE
	v_lshlrev_b32_e32 v0, 4, v0
	s_mov_b32 s2, 0xf8bb580b
	s_mov_b32 s6, 0xd9c712b6
	;; [unrolled: 1-line block ×4, first 2 shown]
	s_clause 0x9
	global_load_b128 v[4:7], v0, s[4:5] offset:880
	global_load_b128 v[10:13], v0, s[4:5] offset:1024
	;; [unrolled: 1-line block ×10, first 2 shown]
	ds_load_b128 v[54:57], v49 offset:1056
	ds_load_b128 v[0:3], v53
	s_mov_b32 s4, 0x8eee2c13
	s_mov_b32 s5, 0xbfed1bb4
	;; [unrolled: 1-line block ×17, first 2 shown]
	s_wait_alu 0xfffe
	s_mov_b32 s10, s4
	s_mov_b32 s15, 0x3fe14ced
	;; [unrolled: 1-line block ×9, first 2 shown]
	s_wait_loadcnt_dscnt 0x901
	v_mul_f64_e32 v[46:47], v[56:57], v[6:7]
	v_mul_f64_e32 v[90:91], v[54:55], v[6:7]
	ds_load_b128 v[6:9], v49 offset:10560
	ds_load_b128 v[58:61], v49 offset:2112
	;; [unrolled: 1-line block ×9, first 2 shown]
	global_wb scope:SCOPE_SE
	s_wait_loadcnt_dscnt 0x0
	s_barrier_signal -1
	s_barrier_wait -1
	global_inv scope:SCOPE_SE
	v_mul_f64_e32 v[92:93], v[6:7], v[12:13]
	v_mul_f64_e32 v[94:95], v[58:59], v[16:17]
	;; [unrolled: 1-line block ×14, first 2 shown]
	v_fma_f64 v[46:47], v[54:55], v[4:5], v[46:47]
	v_fma_f64 v[53:54], v[56:57], v[4:5], -v[90:91]
	v_mul_f64_e32 v[55:56], v[66:67], v[24:25]
	v_mul_f64_e32 v[90:91], v[70:71], v[28:29]
	;; [unrolled: 1-line block ×4, first 2 shown]
	v_fma_f64 v[4:5], v[8:9], v[10:11], -v[92:93]
	v_fma_f64 v[60:61], v[60:61], v[14:15], -v[94:95]
	;; [unrolled: 1-line block ×3, first 2 shown]
	v_fma_f64 v[57:58], v[58:59], v[14:15], v[16:17]
	v_fma_f64 v[6:7], v[6:7], v[10:11], v[98:99]
	;; [unrolled: 1-line block ×5, first 2 shown]
	v_fma_f64 v[18:19], v[76:77], v[34:35], -v[36:37]
	v_fma_f64 v[20:21], v[88:89], v[42:43], -v[106:107]
	v_add_f64_e32 v[64:65], v[0:1], v[46:47]
	v_add_f64_e32 v[92:93], v[2:3], v[53:54]
	v_fma_f64 v[55:56], v[68:69], v[22:23], -v[55:56]
	v_fma_f64 v[12:13], v[72:73], v[26:27], -v[90:91]
	v_fma_f64 v[24:25], v[66:67], v[22:23], v[24:25]
	v_fma_f64 v[14:15], v[70:71], v[26:27], v[28:29]
	v_fma_f64 v[26:27], v[80:81], v[30:31], -v[32:33]
	v_fma_f64 v[30:31], v[86:87], v[42:43], v[44:45]
	v_fma_f64 v[22:23], v[84:85], v[38:39], -v[104:105]
	v_fma_f64 v[28:29], v[82:83], v[38:39], v[40:41]
	v_add_f64_e64 v[32:33], v[53:54], -v[4:5]
	v_add_f64_e32 v[34:35], v[53:54], v[4:5]
	v_add_f64_e64 v[38:39], v[60:61], -v[8:9]
	v_add_f64_e32 v[40:41], v[60:61], v[8:9]
	v_add_f64_e32 v[70:71], v[62:63], v[16:17]
	v_add_f64_e64 v[76:77], v[62:63], -v[16:17]
	v_add_f64_e32 v[36:37], v[64:65], v[57:58]
	v_add_f64_e32 v[42:43], v[92:93], v[60:61]
	;; [unrolled: 1-line block ×3, first 2 shown]
	v_add_f64_e64 v[46:47], v[46:47], -v[6:7]
	v_add_f64_e64 v[44:45], v[55:56], -v[12:13]
	v_add_f64_e32 v[66:67], v[24:25], v[14:15]
	v_add_f64_e64 v[68:69], v[24:25], -v[14:15]
	v_add_f64_e32 v[72:73], v[26:27], v[18:19]
	;; [unrolled: 2-line block ×3, first 2 shown]
	v_add_f64_e32 v[64:65], v[57:58], v[10:11]
	v_add_f64_e64 v[57:58], v[57:58], -v[10:11]
	v_add_f64_e32 v[78:79], v[22:23], v[20:21]
	v_add_f64_e64 v[80:81], v[22:23], -v[20:21]
	;; [unrolled: 2-line block ×3, first 2 shown]
	v_mul_f64_e32 v[86:87], s[2:3], v[32:33]
	v_mul_f64_e32 v[90:91], s[4:5], v[32:33]
	;; [unrolled: 1-line block ×12, first 2 shown]
	s_wait_alu 0xfffe
	v_mul_f64_e32 v[106:107], s[30:31], v[38:39]
	v_mul_f64_e32 v[108:109], s[28:29], v[40:41]
	;; [unrolled: 1-line block ×4, first 2 shown]
	v_add_f64_e32 v[24:25], v[36:37], v[24:25]
	v_add_f64_e32 v[42:43], v[42:43], v[55:56]
	v_mul_f64_e32 v[36:37], s[4:5], v[38:39]
	v_mul_f64_e32 v[55:56], s[22:23], v[40:41]
	;; [unrolled: 1-line block ×17, first 2 shown]
	v_fma_f64 v[156:157], v[59:60], s[12:13], v[86:87]
	v_fma_f64 v[86:87], v[59:60], s[12:13], -v[86:87]
	v_fma_f64 v[158:159], v[46:47], s[10:11], v[92:93]
	v_fma_f64 v[92:93], v[46:47], s[4:5], v[92:93]
	;; [unrolled: 1-line block ×4, first 2 shown]
	v_fma_f64 v[94:95], v[59:60], s[16:17], -v[94:95]
	v_fma_f64 v[164:165], v[59:60], s[22:23], v[98:99]
	v_fma_f64 v[166:167], v[46:47], s[24:25], v[100:101]
	v_fma_f64 v[98:99], v[59:60], s[22:23], -v[98:99]
	v_fma_f64 v[168:169], v[59:60], s[28:29], v[32:33]
	v_fma_f64 v[170:171], v[46:47], s[30:31], v[34:35]
	;; [unrolled: 1-line block ×4, first 2 shown]
	v_fma_f64 v[32:33], v[59:60], s[28:29], -v[32:33]
	v_fma_f64 v[34:35], v[46:47], s[26:27], v[34:35]
	v_fma_f64 v[172:173], v[64:65], s[22:23], v[104:105]
	v_fma_f64 v[104:105], v[64:65], s[22:23], -v[104:105]
	v_fma_f64 v[176:177], v[64:65], s[28:29], v[106:107]
	v_add_f64_e32 v[24:25], v[24:25], v[62:63]
	v_add_f64_e32 v[26:27], v[42:43], v[26:27]
	v_fma_f64 v[42:43], v[59:60], s[6:7], v[90:91]
	v_fma_f64 v[61:62], v[46:47], s[14:15], v[88:89]
	;; [unrolled: 1-line block ×3, first 2 shown]
	v_fma_f64 v[90:91], v[59:60], s[6:7], -v[90:91]
	v_fma_f64 v[46:47], v[64:65], s[6:7], v[36:37]
	v_fma_f64 v[36:37], v[64:65], s[6:7], -v[36:37]
	v_fma_f64 v[174:175], v[57:58], s[24:25], v[55:56]
	v_fma_f64 v[59:60], v[57:58], s[10:11], v[102:103]
	;; [unrolled: 1-line block ×4, first 2 shown]
	v_fma_f64 v[106:107], v[64:65], s[28:29], -v[106:107]
	v_fma_f64 v[180:181], v[64:65], s[16:17], v[110:111]
	v_fma_f64 v[182:183], v[57:58], s[0:1], v[112:113]
	v_fma_f64 v[110:111], v[64:65], s[16:17], -v[110:111]
	v_fma_f64 v[184:185], v[64:65], s[12:13], v[38:39]
	v_fma_f64 v[38:39], v[64:65], s[12:13], -v[38:39]
	v_fma_f64 v[112:113], v[57:58], s[18:19], v[112:113]
	v_add_f64_e32 v[156:157], v[0:1], v[156:157]
	v_add_f64_e32 v[86:87], v[0:1], v[86:87]
	;; [unrolled: 1-line block ×14, first 2 shown]
	v_fma_f64 v[108:109], v[57:58], s[30:31], v[108:109]
	v_fma_f64 v[55:56], v[57:58], s[20:21], v[55:56]
	v_fma_f64 v[63:64], v[66:67], s[16:17], -v[114:115]
	v_fma_f64 v[186:187], v[68:69], s[26:27], v[120:121]
	v_mul_f64_e32 v[140:141], s[12:13], v[72:73]
	v_add_f64_e32 v[24:25], v[24:25], v[28:29]
	v_add_f64_e32 v[22:23], v[26:27], v[22:23]
	;; [unrolled: 1-line block ×3, first 2 shown]
	v_fma_f64 v[28:29], v[57:58], s[2:3], v[40:41]
	v_add_f64_e32 v[88:89], v[2:3], v[88:89]
	v_add_f64_e32 v[90:91], v[0:1], v[90:91]
	v_fma_f64 v[40:41], v[57:58], s[14:15], v[40:41]
	v_add_f64_e32 v[61:62], v[2:3], v[61:62]
	v_add_f64_e32 v[0:1], v[0:1], v[32:33]
	;; [unrolled: 1-line block ×3, first 2 shown]
	v_fma_f64 v[26:27], v[66:67], s[16:17], v[114:115]
	v_fma_f64 v[57:58], v[68:69], s[18:19], v[116:117]
	;; [unrolled: 1-line block ×4, first 2 shown]
	v_fma_f64 v[118:119], v[66:67], s[28:29], -v[118:119]
	v_fma_f64 v[188:189], v[66:67], s[6:7], v[122:123]
	v_fma_f64 v[32:33], v[68:69], s[4:5], v[124:125]
	v_mul_f64_e32 v[142:143], s[26:27], v[74:75]
	v_mul_f64_e32 v[144:145], s[28:29], v[72:73]
	v_add_f64_e32 v[46:47], v[46:47], v[156:157]
	v_add_f64_e32 v[36:37], v[36:37], v[86:87]
	;; [unrolled: 1-line block ×3, first 2 shown]
	v_fma_f64 v[34:35], v[66:67], s[6:7], -v[122:123]
	v_add_f64_e32 v[160:161], v[176:177], v[160:161]
	v_add_f64_e32 v[162:163], v[178:179], v[162:163]
	v_fma_f64 v[122:123], v[68:69], s[10:11], v[124:125]
	v_fma_f64 v[124:125], v[66:67], s[12:13], v[126:127]
	v_add_f64_e32 v[94:95], v[106:107], v[94:95]
	v_add_f64_e32 v[106:107], v[180:181], v[164:165]
	;; [unrolled: 1-line block ×3, first 2 shown]
	v_mul_f64_e32 v[130:131], s[20:21], v[74:75]
	v_mul_f64_e32 v[132:133], s[22:23], v[72:73]
	;; [unrolled: 1-line block ×4, first 2 shown]
	v_fma_f64 v[126:127], v[66:67], s[12:13], -v[126:127]
	v_add_f64_e32 v[98:99], v[110:111], v[98:99]
	v_add_f64_e32 v[110:111], v[184:185], v[168:169]
	v_fma_f64 v[120:121], v[68:69], s[30:31], v[120:121]
	v_add_f64_e32 v[24:25], v[24:25], v[30:31]
	v_add_f64_e32 v[20:21], v[22:23], v[20:21]
	v_add_f64_e32 v[42:43], v[172:173], v[42:43]
	v_fma_f64 v[30:31], v[68:69], s[14:15], v[128:129]
	v_add_f64_e32 v[88:89], v[102:103], v[88:89]
	v_add_f64_e32 v[90:91], v[104:105], v[90:91]
	v_fma_f64 v[22:23], v[66:67], s[22:23], v[44:45]
	v_fma_f64 v[44:45], v[66:67], s[22:23], -v[44:45]
	v_fma_f64 v[65:66], v[68:69], s[24:25], v[53:54]
	v_add_f64_e32 v[28:29], v[28:29], v[170:171]
	v_fma_f64 v[53:54], v[68:69], s[20:21], v[53:54]
	v_add_f64_e32 v[0:1], v[38:39], v[0:1]
	v_add_f64_e32 v[2:3], v[40:41], v[2:3]
	v_fma_f64 v[128:129], v[68:69], s[2:3], v[128:129]
	v_add_f64_e32 v[38:39], v[112:113], v[100:101]
	v_add_f64_e32 v[40:41], v[108:109], v[96:97]
	;; [unrolled: 1-line block ×3, first 2 shown]
	v_mul_f64_e32 v[150:151], s[14:15], v[80:81]
	v_mul_f64_e32 v[152:153], s[12:13], v[78:79]
	v_fma_f64 v[174:175], v[70:71], s[16:17], v[134:135]
	v_fma_f64 v[104:105], v[76:77], s[0:1], v[136:137]
	v_add_f64_e32 v[36:37], v[63:64], v[36:37]
	v_add_f64_e32 v[63:64], v[186:187], v[158:159]
	v_mul_f64_e32 v[154:155], s[20:21], v[80:81]
	v_mul_f64_e32 v[67:68], s[22:23], v[78:79]
	v_add_f64_e32 v[26:27], v[26:27], v[46:47]
	v_add_f64_e32 v[32:33], v[32:33], v[162:163]
	v_mul_f64_e32 v[156:157], s[10:11], v[80:81]
	v_mul_f64_e32 v[86:87], s[6:7], v[78:79]
	v_fma_f64 v[96:97], v[70:71], s[28:29], v[142:143]
	v_fma_f64 v[100:101], v[76:77], s[30:31], v[144:145]
	v_add_f64_e32 v[34:35], v[34:35], v[94:95]
	v_add_f64_e32 v[94:95], v[124:125], v[106:107]
	v_mul_f64_e32 v[146:147], s[26:27], v[80:81]
	v_mul_f64_e32 v[148:149], s[28:29], v[78:79]
	;; [unrolled: 1-line block ×4, first 2 shown]
	v_fma_f64 v[102:103], v[70:71], s[22:23], v[130:131]
	v_add_f64_e32 v[16:17], v[24:25], v[16:17]
	v_add_f64_e32 v[18:19], v[20:21], v[18:19]
	;; [unrolled: 1-line block ×4, first 2 shown]
	v_fma_f64 v[24:25], v[70:71], s[12:13], v[138:139]
	v_fma_f64 v[59:60], v[76:77], s[14:15], v[140:141]
	v_add_f64_e32 v[46:47], v[114:115], v[88:89]
	v_add_f64_e32 v[88:89], v[118:119], v[90:91]
	;; [unrolled: 1-line block ×4, first 2 shown]
	v_fma_f64 v[130:131], v[70:71], s[22:23], -v[130:131]
	v_fma_f64 v[134:135], v[70:71], s[16:17], -v[134:135]
	;; [unrolled: 1-line block ×4, first 2 shown]
	v_fma_f64 v[138:139], v[70:71], s[6:7], v[74:75]
	v_fma_f64 v[69:70], v[70:71], s[6:7], -v[74:75]
	v_fma_f64 v[74:75], v[76:77], s[4:5], v[72:73]
	v_add_f64_e32 v[22:23], v[22:23], v[110:111]
	v_add_f64_e32 v[28:29], v[65:66], v[28:29]
	v_fma_f64 v[71:72], v[76:77], s[10:11], v[72:73]
	v_add_f64_e32 v[0:1], v[44:45], v[0:1]
	v_add_f64_e32 v[2:3], v[53:54], v[2:3]
	v_fma_f64 v[112:113], v[76:77], s[26:27], v[144:145]
	v_add_f64_e32 v[98:99], v[126:127], v[98:99]
	v_add_f64_e32 v[38:39], v[128:129], v[38:39]
	v_fma_f64 v[92:93], v[76:77], s[2:3], v[140:141]
	v_add_f64_e32 v[40:41], v[122:123], v[40:41]
	v_fma_f64 v[136:137], v[76:77], s[18:19], v[136:137]
	v_add_f64_e32 v[44:45], v[120:121], v[55:56]
	v_fma_f64 v[172:173], v[76:77], s[24:25], v[132:133]
	v_fma_f64 v[132:133], v[76:77], s[20:21], v[132:133]
	v_add_f64_e32 v[63:64], v[104:105], v[63:64]
	v_fma_f64 v[65:66], v[84:85], s[24:25], v[67:68]
	v_fma_f64 v[110:111], v[82:83], s[6:7], v[156:157]
	;; [unrolled: 1-line block ×4, first 2 shown]
	v_fma_f64 v[142:143], v[82:83], s[28:29], -v[146:147]
	v_fma_f64 v[144:145], v[84:85], s[26:27], v[148:149]
	v_add_f64_e32 v[14:15], v[16:17], v[14:15]
	v_add_f64_e32 v[12:13], v[18:19], v[12:13]
	;; [unrolled: 1-line block ×3, first 2 shown]
	v_fma_f64 v[18:19], v[82:83], s[12:13], v[150:151]
	v_fma_f64 v[20:21], v[84:85], s[2:3], v[152:153]
	v_add_f64_e32 v[42:43], v[174:175], v[42:43]
	v_fma_f64 v[57:58], v[82:83], s[22:23], v[154:155]
	v_add_f64_e32 v[32:33], v[59:60], v[32:33]
	v_add_f64_e32 v[24:25], v[24:25], v[90:91]
	;; [unrolled: 1-line block ×4, first 2 shown]
	v_fma_f64 v[55:56], v[84:85], s[14:15], v[152:153]
	v_fma_f64 v[67:68], v[84:85], s[20:21], v[67:68]
	;; [unrolled: 1-line block ×6, first 2 shown]
	v_add_f64_e32 v[36:37], v[130:131], v[36:37]
	v_add_f64_e32 v[84:85], v[138:139], v[22:23]
	;; [unrolled: 1-line block ×3, first 2 shown]
	v_fma_f64 v[80:81], v[82:83], s[16:17], -v[80:81]
	v_add_f64_e32 v[69:70], v[69:70], v[0:1]
	v_add_f64_e32 v[2:3], v[71:72], v[2:3]
	v_fma_f64 v[106:107], v[82:83], s[22:23], -v[154:155]
	v_fma_f64 v[116:117], v[82:83], s[6:7], -v[156:157]
	v_add_f64_e32 v[34:35], v[61:62], v[34:35]
	v_add_f64_e32 v[61:62], v[108:109], v[98:99]
	;; [unrolled: 1-line block ×3, first 2 shown]
	v_fma_f64 v[76:77], v[82:83], s[28:29], v[146:147]
	v_fma_f64 v[53:54], v[82:83], s[12:13], -v[150:151]
	v_add_f64_e32 v[26:27], v[102:103], v[26:27]
	v_add_f64_e32 v[82:83], v[134:135], v[88:89]
	;; [unrolled: 1-line block ×30, first 2 shown]
	ds_store_b128 v49, v[12:15] offset:2112
	ds_store_b128 v49, v[20:23] offset:3168
	;; [unrolled: 1-line block ×9, first 2 shown]
	ds_store_b128 v49, v[44:47]
	ds_store_b128 v49, v[0:3] offset:1056
	global_wb scope:SCOPE_SE
	s_wait_dscnt 0x0
	s_barrier_signal -1
	s_barrier_wait -1
	global_inv scope:SCOPE_SE
	s_and_saveexec_b32 s0, vcc_lo
	s_cbranch_execz .LBB0_25
; %bb.24:
	v_lshl_add_u32 v28, v48, 4, v52
	v_dual_mov_b32 v49, 0 :: v_dual_add_nc_u32 v8, 0x42, v48
	v_add_co_u32 v30, vcc_lo, s8, v50
	ds_load_b128 v[0:3], v28
	ds_load_b128 v[4:7], v28 offset:1056
	v_dual_mov_b32 v9, v49 :: v_dual_add_nc_u32 v12, 0x84, v48
	v_lshlrev_b64_e32 v[10:11], 4, v[48:49]
	s_wait_alu 0xfffd
	v_add_co_ci_u32_e32 v31, vcc_lo, s9, v51, vcc_lo
	s_delay_alu instid0(VALU_DEP_3) | instskip(SKIP_1) | instid1(VALU_DEP_4)
	v_lshlrev_b64_e32 v[8:9], 4, v[8:9]
	v_dual_mov_b32 v13, v49 :: v_dual_add_nc_u32 v14, 0xc6, v48
	v_add_co_u32 v10, vcc_lo, v30, v10
	s_wait_alu 0xfffd
	v_add_co_ci_u32_e32 v11, vcc_lo, v31, v11, vcc_lo
	s_delay_alu instid0(VALU_DEP_4)
	v_add_co_u32 v8, vcc_lo, v30, v8
	s_wait_alu 0xfffd
	v_add_co_ci_u32_e32 v9, vcc_lo, v31, v9, vcc_lo
	v_lshlrev_b64_e32 v[12:13], 4, v[12:13]
	v_mov_b32_e32 v15, v49
	v_dual_mov_b32 v23, v49 :: v_dual_add_nc_u32 v24, 0x18c, v48
	s_wait_dscnt 0x1
	global_store_b128 v[10:11], v[0:3], off
	s_wait_dscnt 0x0
	global_store_b128 v[8:9], v[4:7], off
	v_dual_mov_b32 v9, v49 :: v_dual_add_nc_u32 v8, 0x108, v48
	v_add_nc_u32_e32 v22, 0x14a, v48
	ds_load_b128 v[0:3], v28 offset:2112
	ds_load_b128 v[4:7], v28 offset:3168
	v_add_co_u32 v16, vcc_lo, v30, v12
	s_wait_alu 0xfffd
	v_add_co_ci_u32_e32 v17, vcc_lo, v31, v13, vcc_lo
	v_lshlrev_b64_e32 v[18:19], 4, v[14:15]
	v_lshlrev_b64_e32 v[20:21], 4, v[8:9]
	ds_load_b128 v[8:11], v28 offset:4224
	ds_load_b128 v[12:15], v28 offset:5280
	v_lshlrev_b64_e32 v[22:23], 4, v[22:23]
	v_mov_b32_e32 v25, v49
	v_add_co_u32 v18, vcc_lo, v30, v18
	s_wait_alu 0xfffd
	v_add_co_ci_u32_e32 v19, vcc_lo, v31, v19, vcc_lo
	v_add_co_u32 v20, vcc_lo, v30, v20
	s_wait_alu 0xfffd
	v_add_co_ci_u32_e32 v21, vcc_lo, v31, v21, vcc_lo
	v_add_co_u32 v22, vcc_lo, v30, v22
	s_wait_dscnt 0x3
	global_store_b128 v[16:17], v[0:3], off
	s_wait_dscnt 0x2
	global_store_b128 v[18:19], v[4:7], off
	v_dual_mov_b32 v3, v49 :: v_dual_add_nc_u32 v2, 0x1ce, v48
	s_wait_alu 0xfffd
	v_add_co_ci_u32_e32 v23, vcc_lo, v31, v23, vcc_lo
	v_lshlrev_b64_e32 v[0:1], 4, v[24:25]
	s_wait_dscnt 0x1
	global_store_b128 v[20:21], v[8:11], off
	s_wait_dscnt 0x0
	global_store_b128 v[22:23], v[12:15], off
	v_add_nc_u32_e32 v10, 0x210, v48
	v_lshlrev_b64_e32 v[8:9], 4, v[2:3]
	v_dual_mov_b32 v11, v49 :: v_dual_add_nc_u32 v24, 0x252, v48
	v_add_co_u32 v20, vcc_lo, v30, v0
	s_wait_alu 0xfffd
	v_add_co_ci_u32_e32 v21, vcc_lo, v31, v1, vcc_lo
	s_delay_alu instid0(VALU_DEP_4)
	v_add_co_u32 v22, vcc_lo, v30, v8
	ds_load_b128 v[0:3], v28 offset:6336
	ds_load_b128 v[4:7], v28 offset:7392
	s_wait_alu 0xfffd
	v_add_co_ci_u32_e32 v23, vcc_lo, v31, v9, vcc_lo
	v_lshlrev_b64_e32 v[26:27], 4, v[10:11]
	ds_load_b128 v[8:11], v28 offset:8448
	ds_load_b128 v[12:15], v28 offset:9504
	;; [unrolled: 1-line block ×3, first 2 shown]
	v_add_nc_u32_e32 v48, 0x294, v48
	v_lshlrev_b64_e32 v[24:25], 4, v[24:25]
	v_add_co_u32 v26, vcc_lo, v30, v26
	s_delay_alu instid0(VALU_DEP_3) | instskip(SKIP_2) | instid1(VALU_DEP_4)
	v_lshlrev_b64_e32 v[28:29], 4, v[48:49]
	s_wait_alu 0xfffd
	v_add_co_ci_u32_e32 v27, vcc_lo, v31, v27, vcc_lo
	v_add_co_u32 v24, vcc_lo, v30, v24
	s_wait_alu 0xfffd
	v_add_co_ci_u32_e32 v25, vcc_lo, v31, v25, vcc_lo
	v_add_co_u32 v28, vcc_lo, v30, v28
	s_wait_alu 0xfffd
	v_add_co_ci_u32_e32 v29, vcc_lo, v31, v29, vcc_lo
	s_wait_dscnt 0x4
	global_store_b128 v[20:21], v[0:3], off
	s_wait_dscnt 0x3
	global_store_b128 v[22:23], v[4:7], off
	;; [unrolled: 2-line block ×5, first 2 shown]
.LBB0_25:
	s_nop 0
	s_sendmsg sendmsg(MSG_DEALLOC_VGPRS)
	s_endpgm
	.section	.rodata,"a",@progbits
	.p2align	6, 0x0
	.amdhsa_kernel fft_rtc_back_len726_factors_11_6_11_wgs_132_tpt_66_dp_ip_CI_unitstride_sbrr_C2R_dirReg
		.amdhsa_group_segment_fixed_size 0
		.amdhsa_private_segment_fixed_size 0
		.amdhsa_kernarg_size 88
		.amdhsa_user_sgpr_count 2
		.amdhsa_user_sgpr_dispatch_ptr 0
		.amdhsa_user_sgpr_queue_ptr 0
		.amdhsa_user_sgpr_kernarg_segment_ptr 1
		.amdhsa_user_sgpr_dispatch_id 0
		.amdhsa_user_sgpr_private_segment_size 0
		.amdhsa_wavefront_size32 1
		.amdhsa_uses_dynamic_stack 0
		.amdhsa_enable_private_segment 0
		.amdhsa_system_sgpr_workgroup_id_x 1
		.amdhsa_system_sgpr_workgroup_id_y 0
		.amdhsa_system_sgpr_workgroup_id_z 0
		.amdhsa_system_sgpr_workgroup_info 0
		.amdhsa_system_vgpr_workitem_id 0
		.amdhsa_next_free_vgpr 190
		.amdhsa_next_free_sgpr 36
		.amdhsa_reserve_vcc 1
		.amdhsa_float_round_mode_32 0
		.amdhsa_float_round_mode_16_64 0
		.amdhsa_float_denorm_mode_32 3
		.amdhsa_float_denorm_mode_16_64 3
		.amdhsa_fp16_overflow 0
		.amdhsa_workgroup_processor_mode 1
		.amdhsa_memory_ordered 1
		.amdhsa_forward_progress 0
		.amdhsa_round_robin_scheduling 0
		.amdhsa_exception_fp_ieee_invalid_op 0
		.amdhsa_exception_fp_denorm_src 0
		.amdhsa_exception_fp_ieee_div_zero 0
		.amdhsa_exception_fp_ieee_overflow 0
		.amdhsa_exception_fp_ieee_underflow 0
		.amdhsa_exception_fp_ieee_inexact 0
		.amdhsa_exception_int_div_zero 0
	.end_amdhsa_kernel
	.text
.Lfunc_end0:
	.size	fft_rtc_back_len726_factors_11_6_11_wgs_132_tpt_66_dp_ip_CI_unitstride_sbrr_C2R_dirReg, .Lfunc_end0-fft_rtc_back_len726_factors_11_6_11_wgs_132_tpt_66_dp_ip_CI_unitstride_sbrr_C2R_dirReg
                                        ; -- End function
	.section	.AMDGPU.csdata,"",@progbits
; Kernel info:
; codeLenInByte = 9852
; NumSgprs: 38
; NumVgprs: 190
; ScratchSize: 0
; MemoryBound: 0
; FloatMode: 240
; IeeeMode: 1
; LDSByteSize: 0 bytes/workgroup (compile time only)
; SGPRBlocks: 4
; VGPRBlocks: 23
; NumSGPRsForWavesPerEU: 38
; NumVGPRsForWavesPerEU: 190
; Occupancy: 8
; WaveLimiterHint : 1
; COMPUTE_PGM_RSRC2:SCRATCH_EN: 0
; COMPUTE_PGM_RSRC2:USER_SGPR: 2
; COMPUTE_PGM_RSRC2:TRAP_HANDLER: 0
; COMPUTE_PGM_RSRC2:TGID_X_EN: 1
; COMPUTE_PGM_RSRC2:TGID_Y_EN: 0
; COMPUTE_PGM_RSRC2:TGID_Z_EN: 0
; COMPUTE_PGM_RSRC2:TIDIG_COMP_CNT: 0
	.text
	.p2alignl 7, 3214868480
	.fill 96, 4, 3214868480
	.type	__hip_cuid_7854a46a211ee115,@object ; @__hip_cuid_7854a46a211ee115
	.section	.bss,"aw",@nobits
	.globl	__hip_cuid_7854a46a211ee115
__hip_cuid_7854a46a211ee115:
	.byte	0                               ; 0x0
	.size	__hip_cuid_7854a46a211ee115, 1

	.ident	"AMD clang version 19.0.0git (https://github.com/RadeonOpenCompute/llvm-project roc-6.4.0 25133 c7fe45cf4b819c5991fe208aaa96edf142730f1d)"
	.section	".note.GNU-stack","",@progbits
	.addrsig
	.addrsig_sym __hip_cuid_7854a46a211ee115
	.amdgpu_metadata
---
amdhsa.kernels:
  - .args:
      - .actual_access:  read_only
        .address_space:  global
        .offset:         0
        .size:           8
        .value_kind:     global_buffer
      - .offset:         8
        .size:           8
        .value_kind:     by_value
      - .actual_access:  read_only
        .address_space:  global
        .offset:         16
        .size:           8
        .value_kind:     global_buffer
      - .actual_access:  read_only
        .address_space:  global
        .offset:         24
        .size:           8
        .value_kind:     global_buffer
      - .offset:         32
        .size:           8
        .value_kind:     by_value
      - .actual_access:  read_only
        .address_space:  global
        .offset:         40
        .size:           8
        .value_kind:     global_buffer
      - .actual_access:  read_only
        .address_space:  global
        .offset:         48
        .size:           8
        .value_kind:     global_buffer
      - .offset:         56
        .size:           4
        .value_kind:     by_value
      - .actual_access:  read_only
        .address_space:  global
        .offset:         64
        .size:           8
        .value_kind:     global_buffer
      - .actual_access:  read_only
        .address_space:  global
        .offset:         72
        .size:           8
        .value_kind:     global_buffer
      - .address_space:  global
        .offset:         80
        .size:           8
        .value_kind:     global_buffer
    .group_segment_fixed_size: 0
    .kernarg_segment_align: 8
    .kernarg_segment_size: 88
    .language:       OpenCL C
    .language_version:
      - 2
      - 0
    .max_flat_workgroup_size: 132
    .name:           fft_rtc_back_len726_factors_11_6_11_wgs_132_tpt_66_dp_ip_CI_unitstride_sbrr_C2R_dirReg
    .private_segment_fixed_size: 0
    .sgpr_count:     38
    .sgpr_spill_count: 0
    .symbol:         fft_rtc_back_len726_factors_11_6_11_wgs_132_tpt_66_dp_ip_CI_unitstride_sbrr_C2R_dirReg.kd
    .uniform_work_group_size: 1
    .uses_dynamic_stack: false
    .vgpr_count:     190
    .vgpr_spill_count: 0
    .wavefront_size: 32
    .workgroup_processor_mode: 1
amdhsa.target:   amdgcn-amd-amdhsa--gfx1201
amdhsa.version:
  - 1
  - 2
...

	.end_amdgpu_metadata
